;; amdgpu-corpus repo=ROCm/rocFFT kind=compiled arch=gfx950 opt=O3
	.text
	.amdgcn_target "amdgcn-amd-amdhsa--gfx950"
	.amdhsa_code_object_version 6
	.protected	bluestein_single_back_len63_dim1_dp_op_CI_CI ; -- Begin function bluestein_single_back_len63_dim1_dp_op_CI_CI
	.globl	bluestein_single_back_len63_dim1_dp_op_CI_CI
	.p2align	8
	.type	bluestein_single_back_len63_dim1_dp_op_CI_CI,@function
bluestein_single_back_len63_dim1_dp_op_CI_CI: ; @bluestein_single_back_len63_dim1_dp_op_CI_CI
; %bb.0:
	s_load_dwordx4 s[16:19], s[0:1], 0x28
	v_mul_u32_u24_e32 v1, 0xc31, v0
	v_lshrrev_b32_e32 v2, 16, v1
	v_mad_u64_u32 v[72:73], s[2:3], s2, 12, v[2:3]
	v_mov_b32_e32 v75, 0
	v_mov_b32_e32 v73, v75
	s_waitcnt lgkmcnt(0)
	v_cmp_gt_u64_e32 vcc, s[16:17], v[72:73]
	s_and_saveexec_b64 s[2:3], vcc
	s_cbranch_execz .LBB0_10
; %bb.1:
	s_load_dwordx4 s[4:7], s[0:1], 0x18
	s_load_dwordx4 s[8:11], s[0:1], 0x0
	v_mul_lo_u16_e32 v1, 21, v2
	v_sub_u16_e32 v73, v0, v1
	v_mov_b32_e32 v4, s18
	s_waitcnt lgkmcnt(0)
	s_load_dwordx4 s[12:15], s[4:5], 0x0
	v_mov_b32_e32 v5, s19
	v_lshlrev_b32_e32 v74, 4, v73
	global_load_dwordx4 v[8:11], v74, s[8:9]
	s_movk_i32 s5, 0xab
	s_waitcnt lgkmcnt(0)
	v_mad_u64_u32 v[0:1], s[2:3], s14, v72, 0
	v_mov_b32_e32 v2, v1
	v_mad_u64_u32 v[2:3], s[2:3], s15, v72, v[2:3]
	v_mov_b32_e32 v1, v2
	;; [unrolled: 2-line block ×4, first 2 shown]
	v_lshl_add_u64 v[0:1], v[0:1], 4, v[4:5]
	v_lshl_add_u64 v[0:1], v[2:3], 4, v[0:1]
	v_mov_b32_e32 v6, 0x150
	v_mad_u64_u32 v[4:5], s[2:3], s12, v6, v[0:1]
	s_mul_i32 s4, s13, 0x150
	global_load_dwordx4 v[12:15], v[0:1], off
	v_add_u32_e32 v5, s4, v5
	global_load_dwordx4 v[16:19], v[4:5], off
	global_load_dwordx4 v[0:3], v74, s[8:9] offset:336
	v_mad_u64_u32 v[24:25], s[2:3], s12, v6, v[4:5]
	v_add_u32_e32 v25, s4, v25
	global_load_dwordx4 v[4:7], v74, s[8:9] offset:672
	global_load_dwordx4 v[20:23], v[24:25], off
	s_mov_b32 s4, 0xaaaaaaab
	v_mul_hi_u32 v24, v72, s4
	v_lshrrev_b32_e32 v24, 3, v24
	v_mul_lo_u16_sdwa v26, v73, s5 dst_sel:DWORD dst_unused:UNUSED_PAD src0_sel:BYTE_0 src1_sel:DWORD
	v_mul_lo_u32 v24, v24, 12
	v_lshrrev_b16_e32 v36, 9, v26
	v_sub_u32_e32 v24, v72, v24
	v_mul_lo_u16_e32 v26, 3, v36
	v_mul_u32_u24_e32 v24, 63, v24
	v_sub_u16_e32 v37, v73, v26
	v_lshlrev_b32_e32 v87, 4, v24
	v_lshlrev_b16_e32 v24, 1, v37
	v_mul_lo_u16_e32 v25, 3, v73
	v_and_b32_e32 v24, 0xfe, v24
	v_lshl_add_u32 v88, v25, 4, v87
	v_lshlrev_b32_e32 v38, 4, v24
	v_add_u32_e32 v86, v74, v87
	s_load_dwordx4 s[4:7], s[6:7], 0x0
	s_mov_b32 s2, 0xe8584caa
	s_mov_b32 s3, 0x3febb67a
	s_mov_b32 s13, 0xbfebb67a
	s_mov_b32 s12, s2
	s_load_dwordx2 s[0:1], s[0:1], 0x38
	v_cmp_gt_u16_e32 vcc, 9, v73
                                        ; implicit-def: $vgpr56_vgpr57
                                        ; implicit-def: $vgpr60_vgpr61
                                        ; implicit-def: $vgpr64_vgpr65
                                        ; implicit-def: $vgpr68_vgpr69
	s_waitcnt vmcnt(4)
	v_mul_f64 v[24:25], v[14:15], v[10:11]
	v_mul_f64 v[26:27], v[12:13], v[10:11]
	v_fmac_f64_e32 v[24:25], v[12:13], v[8:9]
	v_fma_f64 v[26:27], v[14:15], v[8:9], -v[26:27]
	s_waitcnt vmcnt(2)
	v_mul_f64 v[12:13], v[18:19], v[2:3]
	v_mul_f64 v[14:15], v[16:17], v[2:3]
	v_fmac_f64_e32 v[12:13], v[16:17], v[0:1]
	v_fma_f64 v[14:15], v[18:19], v[0:1], -v[14:15]
	ds_write_b128 v86, v[12:15] offset:336
	s_waitcnt vmcnt(0)
	v_mul_f64 v[12:13], v[22:23], v[6:7]
	v_mul_f64 v[14:15], v[20:21], v[6:7]
	v_fmac_f64_e32 v[12:13], v[20:21], v[4:5]
	v_fma_f64 v[14:15], v[22:23], v[4:5], -v[14:15]
	ds_write_b128 v86, v[24:27]
	ds_write_b128 v86, v[12:15] offset:672
	s_waitcnt lgkmcnt(0)
	s_barrier
	ds_read_b128 v[12:15], v86
	ds_read_b128 v[16:19], v86 offset:336
	ds_read_b128 v[20:23], v86 offset:672
	s_waitcnt lgkmcnt(0)
	s_barrier
	v_add_f64 v[24:25], v[12:13], v[16:17]
	v_add_f64 v[26:27], v[16:17], v[20:21]
	;; [unrolled: 1-line block ×3, first 2 shown]
	v_add_f64 v[28:29], v[18:19], -v[22:23]
	v_add_f64 v[30:31], v[14:15], v[18:19]
	v_add_f64 v[34:35], v[16:17], -v[20:21]
	v_fmac_f64_e32 v[12:13], -0.5, v[26:27]
	v_fmac_f64_e32 v[14:15], -0.5, v[32:33]
	v_add_f64 v[16:17], v[24:25], v[20:21]
	v_add_f64 v[18:19], v[30:31], v[22:23]
	v_fma_f64 v[20:21], s[2:3], v[28:29], v[12:13]
	v_fmac_f64_e32 v[12:13], s[12:13], v[28:29]
	v_fma_f64 v[22:23], s[12:13], v[34:35], v[14:15]
	v_fmac_f64_e32 v[14:15], s[2:3], v[34:35]
	ds_write_b128 v88, v[16:19]
	ds_write_b128 v88, v[20:23] offset:16
	ds_write_b128 v88, v[12:15] offset:32
	s_waitcnt lgkmcnt(0)
	s_barrier
	global_load_dwordx4 v[16:19], v38, s[10:11]
	global_load_dwordx4 v[12:15], v38, s[10:11] offset:16
	v_mad_legacy_u16 v20, v36, 9, v37
	v_and_b32_e32 v20, 0xff, v20
	v_lshl_add_u32 v89, v20, 4, v87
	ds_read_b128 v[48:51], v86
	ds_read_b128 v[20:23], v86 offset:336
	ds_read_b128 v[24:27], v86 offset:672
	s_waitcnt lgkmcnt(0)
	s_barrier
	s_waitcnt vmcnt(1)
	v_mul_f64 v[28:29], v[22:23], v[18:19]
	v_mul_f64 v[30:31], v[20:21], v[18:19]
	s_waitcnt vmcnt(0)
	v_mul_f64 v[32:33], v[26:27], v[14:15]
	v_mul_f64 v[34:35], v[24:25], v[14:15]
	v_fma_f64 v[20:21], v[20:21], v[16:17], -v[28:29]
	v_fmac_f64_e32 v[30:31], v[22:23], v[16:17]
	v_fma_f64 v[22:23], v[24:25], v[12:13], -v[32:33]
	v_fmac_f64_e32 v[34:35], v[26:27], v[12:13]
	v_add_f64 v[26:27], v[20:21], v[22:23]
	v_add_f64 v[28:29], v[30:31], -v[34:35]
	v_add_f64 v[32:33], v[50:51], v[30:31]
	v_add_f64 v[30:31], v[30:31], v[34:35]
	;; [unrolled: 1-line block ×3, first 2 shown]
	v_add_f64 v[20:21], v[20:21], -v[22:23]
	v_fmac_f64_e32 v[48:49], -0.5, v[26:27]
	v_fmac_f64_e32 v[50:51], -0.5, v[30:31]
	v_add_f64 v[44:45], v[24:25], v[22:23]
	v_add_f64 v[46:47], v[32:33], v[34:35]
	v_fma_f64 v[52:53], s[2:3], v[28:29], v[48:49]
	v_fmac_f64_e32 v[48:49], s[12:13], v[28:29]
	v_fma_f64 v[54:55], s[12:13], v[20:21], v[50:51]
	v_fmac_f64_e32 v[50:51], s[2:3], v[20:21]
	ds_write_b128 v89, v[44:47]
	ds_write_b128 v89, v[52:55] offset:48
	ds_write_b128 v89, v[48:51] offset:96
	s_waitcnt lgkmcnt(0)
	s_barrier
	s_and_saveexec_b64 s[2:3], vcc
	s_cbranch_execz .LBB0_3
; %bb.2:
	ds_read_b128 v[44:47], v86
	ds_read_b128 v[52:55], v86 offset:144
	ds_read_b128 v[48:51], v86 offset:288
	;; [unrolled: 1-line block ×6, first 2 shown]
.LBB0_3:
	s_or_b64 exec, exec, s[2:3]
	v_mov_b32_e32 v20, 57
	v_mul_lo_u16_sdwa v20, v73, v20 dst_sel:DWORD dst_unused:UNUSED_PAD src0_sel:BYTE_0 src1_sel:DWORD
	v_lshrrev_b16_e32 v20, 9, v20
	v_mul_lo_u16_e32 v20, 9, v20
	v_sub_u16_e32 v20, v73, v20
	v_mul_lo_u16_e32 v20, 6, v20
	v_and_b32_e32 v20, 0xfe, v20
	v_lshlrev_b32_e32 v76, 4, v20
	global_load_dwordx4 v[32:35], v76, s[10:11] offset:96
	global_load_dwordx4 v[28:31], v76, s[10:11] offset:112
	global_load_dwordx4 v[24:27], v76, s[10:11] offset:128
	global_load_dwordx4 v[20:23], v76, s[10:11] offset:144
	global_load_dwordx4 v[36:39], v76, s[10:11] offset:160
	global_load_dwordx4 v[40:43], v76, s[10:11] offset:176
	s_mov_b32 s2, 0x36b3c0b5
	s_mov_b32 s10, 0x37e14327
	;; [unrolled: 1-line block ×10, first 2 shown]
	s_waitcnt vmcnt(5) lgkmcnt(5)
	v_mul_f64 v[76:77], v[54:55], v[34:35]
	v_mul_f64 v[78:79], v[52:53], v[34:35]
	s_waitcnt vmcnt(4) lgkmcnt(4)
	v_mul_f64 v[80:81], v[50:51], v[30:31]
	v_mul_f64 v[82:83], v[48:49], v[30:31]
	;; [unrolled: 3-line block ×6, first 2 shown]
	v_fma_f64 v[52:53], v[52:53], v[32:33], -v[76:77]
	v_fmac_f64_e32 v[78:79], v[54:55], v[32:33]
	v_fma_f64 v[48:49], v[48:49], v[28:29], -v[80:81]
	v_fmac_f64_e32 v[82:83], v[50:51], v[28:29]
	;; [unrolled: 2-line block ×6, first 2 shown]
	v_add_f64 v[60:61], v[52:53], v[58:59]
	v_add_f64 v[62:63], v[48:49], v[56:57]
	;; [unrolled: 1-line block ×6, first 2 shown]
	v_add_f64 v[52:53], v[52:53], -v[58:59]
	v_add_f64 v[58:59], v[78:79], -v[102:103]
	;; [unrolled: 1-line block ×6, first 2 shown]
	v_add_f64 v[76:77], v[62:63], v[60:61]
	v_add_f64 v[78:79], v[68:69], v[66:67]
	v_add_f64 v[82:83], v[64:65], -v[62:63]
	v_add_f64 v[84:85], v[68:69], -v[66:67]
	;; [unrolled: 1-line block ×6, first 2 shown]
	v_add_f64 v[66:67], v[50:51], v[48:49]
	v_add_f64 v[92:93], v[54:55], v[56:57]
	v_add_f64 v[94:95], v[54:55], -v[56:57]
	v_add_f64 v[64:65], v[64:65], v[76:77]
	v_add_f64 v[96:97], v[70:71], v[78:79]
	v_mul_f64 v[76:77], v[82:83], s[2:3]
	v_mul_f64 v[78:79], v[68:69], s[2:3]
	v_add_f64 v[90:91], v[50:51], -v[48:49]
	v_add_f64 v[50:51], v[52:53], -v[50:51]
	;; [unrolled: 1-line block ×5, first 2 shown]
	v_add_f64 v[52:53], v[66:67], v[52:53]
	v_add_f64 v[58:59], v[92:93], v[58:59]
	v_mul_f64 v[70:71], v[60:61], s[10:11]
	v_mul_f64 v[92:93], v[62:63], s[10:11]
	;; [unrolled: 1-line block ×3, first 2 shown]
	v_add_f64 v[62:63], v[46:47], v[96:97]
	v_fma_f64 v[46:47], v[80:81], s[12:13], -v[76:77]
	v_fma_f64 v[94:95], v[84:85], s[12:13], -v[78:79]
	s_mov_b32 s13, 0xbfe77f67
	v_mul_f64 v[90:91], v[90:91], s[14:15]
	v_add_f64 v[60:61], v[44:45], v[64:65]
	v_fma_f64 v[44:45], s[2:3], v[82:83], v[70:71]
	v_fma_f64 v[84:85], v[84:85], s[12:13], -v[92:93]
	v_fmac_f64_e32 v[92:93], s[2:3], v[68:69]
	s_mov_b32 s3, 0x3fd5d0dc
	s_mov_b32 s2, 0xb247c609
	v_fma_f64 v[80:81], v[80:81], s[12:13], -v[70:71]
	v_mul_f64 v[70:71], v[48:49], s[16:17]
	v_fma_f64 v[98:99], v[48:49], s[16:17], -v[90:91]
	v_fma_f64 v[68:69], s[2:3], v[50:51], v[90:91]
	v_fma_f64 v[48:49], v[56:57], s[16:17], -v[66:67]
	v_fmac_f64_e32 v[66:67], s[2:3], v[54:55]
	s_mov_b32 s3, 0xbfd5d0dc
	v_fma_f64 v[78:79], v[50:51], s[2:3], -v[70:71]
	v_mul_f64 v[50:51], v[56:57], s[16:17]
	v_fma_f64 v[76:77], v[54:55], s[2:3], -v[50:51]
	s_mov_b32 s2, 0xaaaaaaaa
	s_mov_b32 s3, 0xbff2aaaa
	v_fma_f64 v[50:51], s[2:3], v[64:65], v[60:61]
	v_add_f64 v[70:71], v[44:45], v[50:51]
	v_fma_f64 v[44:45], s[2:3], v[96:97], v[62:63]
	s_mov_b32 s2, 0x37c3f68c
	s_mov_b32 s3, 0x3fdc38aa
	v_add_f64 v[54:55], v[46:47], v[50:51]
	v_add_f64 v[82:83], v[80:81], v[50:51]
	;; [unrolled: 1-line block ×5, first 2 shown]
	v_fmac_f64_e32 v[68:69], s[2:3], v[52:53]
	v_fmac_f64_e32 v[66:67], s[2:3], v[58:59]
	;; [unrolled: 1-line block ×6, first 2 shown]
	v_add_f64 v[44:45], v[54:55], -v[48:49]
	v_add_f64 v[46:47], v[98:99], v[50:51]
	v_add_f64 v[48:49], v[48:49], v[54:55]
	v_add_f64 v[50:51], v[50:51], -v[98:99]
	v_add_f64 v[52:53], v[82:83], -v[76:77]
	v_add_f64 v[54:55], v[78:79], v[84:85]
	v_add_f64 v[56:57], v[70:71], -v[66:67]
	v_add_f64 v[58:59], v[68:69], v[80:81]
	v_lshl_add_u64 v[64:65], s[8:9], 0, v[74:75]
	s_and_saveexec_b64 s[2:3], vcc
	s_cbranch_execz .LBB0_5
; %bb.4:
	v_add_f64 v[68:69], v[80:81], -v[68:69]
	v_add_f64 v[66:67], v[66:67], v[70:71]
	ds_write_b128 v86, v[60:63]
	v_lshl_add_u32 v60, v73, 4, v87
	v_add_f64 v[78:79], v[84:85], -v[78:79]
	v_add_f64 v[76:77], v[76:77], v[82:83]
	ds_write_b128 v60, v[66:69] offset:144
	ds_write_b128 v60, v[76:79] offset:288
	;; [unrolled: 1-line block ×6, first 2 shown]
.LBB0_5:
	s_or_b64 exec, exec, s[2:3]
	s_add_u32 s2, s8, 0x3f0
	s_waitcnt lgkmcnt(0)
	s_barrier
	global_load_dwordx4 v[60:63], v[64:65], off offset:1008
	s_addc_u32 s3, s9, 0
	global_load_dwordx4 v[64:67], v74, s[2:3] offset:336
	global_load_dwordx4 v[68:71], v74, s[2:3] offset:672
	ds_read_b128 v[74:77], v86
	ds_read_b128 v[78:81], v86 offset:336
	ds_read_b128 v[82:85], v86 offset:672
	s_mov_b32 s2, 0xe8584caa
	s_mov_b32 s3, 0xbfebb67a
	;; [unrolled: 1-line block ×4, first 2 shown]
	s_waitcnt vmcnt(2) lgkmcnt(2)
	v_mul_f64 v[90:91], v[76:77], v[62:63]
	v_mul_f64 v[92:93], v[74:75], v[62:63]
	v_fma_f64 v[90:91], v[74:75], v[60:61], -v[90:91]
	v_fmac_f64_e32 v[92:93], v[76:77], v[60:61]
	s_waitcnt vmcnt(1) lgkmcnt(1)
	v_mul_f64 v[60:61], v[80:81], v[66:67]
	v_mul_f64 v[62:63], v[78:79], v[66:67]
	s_waitcnt vmcnt(0) lgkmcnt(0)
	v_mul_f64 v[74:75], v[84:85], v[70:71]
	v_mul_f64 v[66:67], v[82:83], v[70:71]
	v_fma_f64 v[60:61], v[78:79], v[64:65], -v[60:61]
	v_fmac_f64_e32 v[62:63], v[80:81], v[64:65]
	v_fma_f64 v[64:65], v[82:83], v[68:69], -v[74:75]
	v_fmac_f64_e32 v[66:67], v[84:85], v[68:69]
	ds_write_b128 v86, v[90:93]
	ds_write_b128 v86, v[60:63] offset:336
	ds_write_b128 v86, v[64:67] offset:672
	s_waitcnt lgkmcnt(0)
	s_barrier
	ds_read_b128 v[60:63], v86
	ds_read_b128 v[64:67], v86 offset:336
	ds_read_b128 v[68:71], v86 offset:672
	s_waitcnt lgkmcnt(0)
	s_barrier
	v_add_f64 v[74:75], v[60:61], v[64:65]
	v_add_f64 v[76:77], v[64:65], v[68:69]
	;; [unrolled: 1-line block ×3, first 2 shown]
	v_add_f64 v[78:79], v[66:67], -v[70:71]
	v_add_f64 v[80:81], v[62:63], v[66:67]
	v_add_f64 v[84:85], v[64:65], -v[68:69]
	v_fmac_f64_e32 v[60:61], -0.5, v[76:77]
	v_fmac_f64_e32 v[62:63], -0.5, v[82:83]
	v_add_f64 v[64:65], v[74:75], v[68:69]
	v_add_f64 v[66:67], v[80:81], v[70:71]
	v_fma_f64 v[68:69], s[2:3], v[78:79], v[60:61]
	v_fmac_f64_e32 v[60:61], s[8:9], v[78:79]
	v_fma_f64 v[70:71], s[8:9], v[84:85], v[62:63]
	v_fmac_f64_e32 v[62:63], s[2:3], v[84:85]
	ds_write_b128 v88, v[64:67]
	ds_write_b128 v88, v[68:71] offset:16
	ds_write_b128 v88, v[60:63] offset:32
	s_waitcnt lgkmcnt(0)
	s_barrier
	ds_read_b128 v[60:63], v86
	ds_read_b128 v[64:67], v86 offset:336
	ds_read_b128 v[68:71], v86 offset:672
	s_waitcnt lgkmcnt(0)
	s_barrier
	v_mul_f64 v[74:75], v[18:19], v[66:67]
	v_mul_f64 v[18:19], v[18:19], v[64:65]
	v_mul_f64 v[76:77], v[14:15], v[70:71]
	v_mul_f64 v[14:15], v[14:15], v[68:69]
	v_fmac_f64_e32 v[74:75], v[16:17], v[64:65]
	v_fma_f64 v[16:17], v[16:17], v[66:67], -v[18:19]
	v_fmac_f64_e32 v[76:77], v[12:13], v[68:69]
	v_fma_f64 v[14:15], v[12:13], v[70:71], -v[14:15]
	v_add_f64 v[18:19], v[74:75], v[76:77]
	v_add_f64 v[64:65], v[16:17], -v[14:15]
	v_add_f64 v[66:67], v[62:63], v[16:17]
	v_add_f64 v[16:17], v[16:17], v[14:15]
	;; [unrolled: 1-line block ×3, first 2 shown]
	v_add_f64 v[68:69], v[74:75], -v[76:77]
	v_fmac_f64_e32 v[60:61], -0.5, v[18:19]
	v_fmac_f64_e32 v[62:63], -0.5, v[16:17]
	v_add_f64 v[12:13], v[12:13], v[76:77]
	v_add_f64 v[14:15], v[66:67], v[14:15]
	v_fma_f64 v[16:17], s[2:3], v[64:65], v[60:61]
	v_fmac_f64_e32 v[60:61], s[8:9], v[64:65]
	v_fma_f64 v[18:19], s[8:9], v[68:69], v[62:63]
	v_fmac_f64_e32 v[62:63], s[2:3], v[68:69]
	ds_write_b128 v89, v[12:15]
	ds_write_b128 v89, v[16:19] offset:48
	ds_write_b128 v89, v[60:63] offset:96
	s_waitcnt lgkmcnt(0)
	s_barrier
	s_and_saveexec_b64 s[2:3], vcc
	s_cbranch_execz .LBB0_7
; %bb.6:
	ds_read_b128 v[12:15], v86
	ds_read_b128 v[16:19], v86 offset:144
	ds_read_b128 v[60:63], v86 offset:288
	;; [unrolled: 1-line block ×6, first 2 shown]
.LBB0_7:
	s_or_b64 exec, exec, s[2:3]
	s_and_saveexec_b64 s[2:3], vcc
	s_cbranch_execz .LBB0_9
; %bb.8:
	s_waitcnt lgkmcnt(5)
	v_mul_f64 v[64:65], v[34:35], v[18:19]
	v_fmac_f64_e32 v[64:65], v[32:33], v[16:17]
	v_mul_f64 v[16:17], v[34:35], v[16:17]
	v_fma_f64 v[16:17], v[32:33], v[18:19], -v[16:17]
	s_waitcnt lgkmcnt(1)
	v_mul_f64 v[18:19], v[38:39], v[52:53]
	s_waitcnt lgkmcnt(0)
	v_mul_f64 v[66:67], v[42:43], v[58:59]
	v_mul_f64 v[80:81], v[30:31], v[62:63]
	;; [unrolled: 1-line block ×3, first 2 shown]
	v_fma_f64 v[34:35], v[36:37], v[54:55], -v[18:19]
	v_mul_f64 v[18:19], v[30:31], v[60:61]
	v_fmac_f64_e32 v[66:67], v[40:41], v[56:57]
	v_mul_f64 v[70:71], v[22:23], v[50:51]
	v_mul_f64 v[74:75], v[26:27], v[46:47]
	v_fmac_f64_e32 v[80:81], v[28:29], v[60:61]
	v_fma_f64 v[40:41], v[40:41], v[58:59], -v[42:43]
	v_fma_f64 v[28:29], v[28:29], v[62:63], -v[18:19]
	v_mul_f64 v[26:27], v[26:27], v[44:45]
	v_mul_f64 v[22:23], v[22:23], v[48:49]
	v_fmac_f64_e32 v[70:71], v[20:21], v[48:49]
	v_fmac_f64_e32 v[74:75], v[24:25], v[44:45]
	v_add_f64 v[32:33], v[16:17], v[40:41]
	v_add_f64 v[30:31], v[28:29], v[34:35]
	v_fma_f64 v[24:25], v[24:25], v[46:47], -v[26:27]
	v_fma_f64 v[20:21], v[20:21], v[50:51], -v[22:23]
	v_add_f64 v[18:19], v[30:31], v[32:33]
	v_add_f64 v[22:23], v[24:25], v[20:21]
	;; [unrolled: 1-line block ×3, first 2 shown]
	v_mul_f64 v[82:83], v[38:39], v[54:55]
	v_add_f64 v[14:15], v[14:15], v[18:19]
	s_mov_b32 s14, 0xaaaaaaaa
	v_fmac_f64_e32 v[82:83], v[36:37], v[52:53]
	s_mov_b32 s15, 0xbff2aaaa
	v_mov_b64_e32 v[26:27], v[14:15]
	s_mov_b32 s16, 0x37e14327
	v_fmac_f64_e32 v[26:27], s[14:15], v[18:19]
	v_add_f64 v[18:19], v[32:33], -v[22:23]
	s_mov_b32 s17, 0x3fe948f6
	v_add_f64 v[44:45], v[64:65], v[66:67]
	v_add_f64 v[46:47], v[80:81], v[82:83]
	v_mul_f64 v[36:37], v[18:19], s[16:17]
	v_add_f64 v[18:19], v[22:23], -v[30:31]
	v_add_f64 v[22:23], v[46:47], v[44:45]
	v_add_f64 v[48:49], v[74:75], v[70:71]
	;; [unrolled: 1-line block ×4, first 2 shown]
	v_mov_b64_e32 v[50:51], v[12:13]
	s_mov_b32 s18, 0x36b3c0b5
	v_fmac_f64_e32 v[50:51], s[14:15], v[22:23]
	v_add_f64 v[22:23], v[44:45], -v[48:49]
	s_mov_b32 s19, 0x3fac98ee
	v_mul_f64 v[52:53], v[22:23], s[16:17]
	v_add_f64 v[22:23], v[48:49], -v[46:47]
	v_add_f64 v[76:77], v[70:71], -v[74:75]
	;; [unrolled: 1-line block ×3, first 2 shown]
	s_mov_b32 s12, 0xe976ee23
	v_mul_f64 v[48:49], v[22:23], s[18:19]
	v_fma_f64 v[22:23], s[18:19], v[22:23], v[52:53]
	v_add_f64 v[40:41], v[16:17], -v[40:41]
	v_add_f64 v[16:17], v[20:21], -v[24:25]
	;; [unrolled: 1-line block ×4, first 2 shown]
	s_mov_b32 s13, 0x3fe11646
	v_add_f64 v[54:55], v[22:23], v[50:51]
	v_add_f64 v[22:23], v[16:17], -v[24:25]
	v_add_f64 v[68:69], v[64:65], -v[66:67]
	v_mul_f64 v[88:89], v[88:89], s[12:13]
	v_mul_f64 v[28:29], v[22:23], s[12:13]
	s_mov_b32 s12, 0x429ad128
	v_add_f64 v[78:79], v[68:69], -v[76:77]
	s_mov_b32 s11, 0xbfd5d0dc
	s_mov_b32 s10, 0xb247c609
	v_add_f64 v[20:21], v[40:41], -v[16:17]
	v_add_f64 v[58:59], v[84:85], -v[68:69]
	s_mov_b32 s13, 0xbfebfeb5
	v_fma_f64 v[90:91], s[10:11], v[78:79], v[88:89]
	v_fma_f64 v[56:57], s[10:11], v[20:21], v[28:29]
	v_mul_f64 v[22:23], v[58:59], s[12:13]
	s_mov_b32 s11, 0x3fd5d0dc
	v_add_f64 v[30:31], v[30:31], -v[32:33]
	s_mov_b32 s15, 0xbfe77f67
	s_mov_b32 s14, 0x5476071b
	v_mul_f64 v[38:39], v[18:19], s[18:19]
	v_fma_f64 v[18:19], s[18:19], v[18:19], v[36:37]
	v_fma_f64 v[60:61], v[78:79], s[10:11], -v[22:23]
	v_fma_f64 v[22:23], v[30:31], s[14:15], -v[36:37]
	v_add_f64 v[36:37], v[46:47], -v[44:45]
	v_add_f64 v[76:77], v[76:77], v[84:85]
	s_mov_b32 s8, 0x37c3f68c
	v_add_f64 v[16:17], v[16:17], v[24:25]
	v_fma_f64 v[44:45], v[36:37], s[14:15], -v[52:53]
	v_add_f64 v[24:25], v[24:25], -v[40:41]
	s_mov_b32 s15, 0x3fe77f67
	v_add_f64 v[76:77], v[76:77], v[68:69]
	s_mov_b32 s9, 0xbfdc38aa
	v_add_f64 v[34:35], v[16:17], v[40:41]
	v_mul_f64 v[40:41], v[24:25], s[12:13]
	v_fma_f64 v[30:31], v[30:31], s[14:15], -v[38:39]
	v_fma_f64 v[38:39], v[58:59], s[12:13], -v[88:89]
	v_fma_f64 v[36:37], v[36:37], s[14:15], -v[48:49]
	v_fma_f64 v[28:29], v[24:25], s[12:13], -v[28:29]
	v_fmac_f64_e32 v[90:91], s[8:9], v[76:77]
	v_add_f64 v[42:43], v[18:19], v[26:27]
	v_fmac_f64_e32 v[56:57], s[8:9], v[34:35]
	v_fma_f64 v[40:41], v[20:21], s[10:11], -v[40:41]
	v_add_f64 v[30:31], v[30:31], v[26:27]
	v_fmac_f64_e32 v[38:39], s[8:9], v[76:77]
	v_add_f64 v[36:37], v[36:37], v[50:51]
	v_fmac_f64_e32 v[28:29], s[8:9], v[34:35]
	v_fmac_f64_e32 v[60:61], s[8:9], v[76:77]
	v_add_f64 v[32:33], v[22:23], v[26:27]
	v_add_f64 v[44:45], v[44:45], v[50:51]
	v_fmac_f64_e32 v[40:41], s[8:9], v[34:35]
	v_add_f64 v[26:27], v[30:31], -v[38:39]
	v_add_f64 v[24:25], v[28:29], v[36:37]
	v_add_f64 v[30:31], v[38:39], v[30:31]
	v_add_f64 v[28:29], v[36:37], -v[28:29]
	v_add_f64 v[38:39], v[42:43], -v[90:91]
	v_add_f64 v[36:37], v[56:57], v[54:55]
	ds_write_b128 v86, v[12:15]
	v_lshl_add_u32 v12, v73, 4, v87
	v_add_f64 v[18:19], v[90:91], v[42:43]
	v_add_f64 v[16:17], v[54:55], -v[56:57]
	v_add_f64 v[22:23], v[60:61], v[32:33]
	v_add_f64 v[20:21], v[44:45], -v[40:41]
	v_add_f64 v[34:35], v[32:33], -v[60:61]
	v_add_f64 v[32:33], v[40:41], v[44:45]
	ds_write_b128 v12, v[36:39] offset:144
	ds_write_b128 v12, v[32:35] offset:288
	;; [unrolled: 1-line block ×6, first 2 shown]
.LBB0_9:
	s_or_b64 exec, exec, s[2:3]
	s_waitcnt lgkmcnt(0)
	s_barrier
	ds_read_b128 v[12:15], v86
	v_mov_b32_e32 v24, s0
	v_mov_b32_e32 v25, s1
	v_mad_u64_u32 v[26:27], s[0:1], s6, v72, 0
	v_mov_b32_e32 v16, v27
	v_mad_u64_u32 v[16:17], s[0:1], s7, v72, v[16:17]
	v_mov_b32_e32 v27, v16
	ds_read_b128 v[16:19], v86 offset:336
	s_waitcnt lgkmcnt(1)
	v_mul_f64 v[20:21], v[10:11], v[14:15]
	s_mov_b32 s0, 0x10410410
	v_mul_f64 v[10:11], v[10:11], v[12:13]
	v_fmac_f64_e32 v[20:21], v[8:9], v[12:13]
	s_mov_b32 s1, 0x3f904104
	v_fma_f64 v[8:9], v[8:9], v[14:15], -v[10:11]
	v_mul_f64 v[22:23], v[8:9], s[0:1]
	v_mad_u64_u32 v[8:9], s[2:3], s4, v73, 0
	v_mov_b32_e32 v10, v9
	v_mad_u64_u32 v[10:11], s[2:3], s5, v73, v[10:11]
	v_mov_b32_e32 v9, v10
	v_lshl_add_u64 v[10:11], v[26:27], 4, v[24:25]
	v_lshl_add_u64 v[12:13], v[8:9], 4, v[10:11]
	s_waitcnt lgkmcnt(0)
	v_mul_f64 v[8:9], v[2:3], v[18:19]
	v_mul_f64 v[2:3], v[2:3], v[16:17]
	v_fmac_f64_e32 v[8:9], v[0:1], v[16:17]
	v_fma_f64 v[0:1], v[0:1], v[18:19], -v[2:3]
	v_mul_f64 v[10:11], v[0:1], s[0:1]
	ds_read_b128 v[0:3], v86 offset:672
	v_mul_f64 v[20:21], v[20:21], s[0:1]
	v_mov_b32_e32 v14, 0x150
	global_store_dwordx4 v[12:13], v[20:23], off
	v_mad_u64_u32 v[12:13], s[2:3], s4, v14, v[12:13]
	s_mul_i32 s2, s5, 0x150
	v_mul_f64 v[8:9], v[8:9], s[0:1]
	v_add_u32_e32 v13, s2, v13
	global_store_dwordx4 v[12:13], v[8:11], off
	s_waitcnt lgkmcnt(0)
	s_nop 0
	v_mul_f64 v[8:9], v[6:7], v[2:3]
	v_fmac_f64_e32 v[8:9], v[4:5], v[0:1]
	v_mul_f64 v[0:1], v[6:7], v[0:1]
	v_fma_f64 v[0:1], v[4:5], v[2:3], -v[0:1]
	v_mul_f64 v[8:9], v[8:9], s[0:1]
	v_mul_f64 v[10:11], v[0:1], s[0:1]
	v_mad_u64_u32 v[0:1], s[0:1], s4, v14, v[12:13]
	v_add_u32_e32 v1, s2, v1
	global_store_dwordx4 v[0:1], v[8:11], off
.LBB0_10:
	s_endpgm
	.section	.rodata,"a",@progbits
	.p2align	6, 0x0
	.amdhsa_kernel bluestein_single_back_len63_dim1_dp_op_CI_CI
		.amdhsa_group_segment_fixed_size 12096
		.amdhsa_private_segment_fixed_size 0
		.amdhsa_kernarg_size 104
		.amdhsa_user_sgpr_count 2
		.amdhsa_user_sgpr_dispatch_ptr 0
		.amdhsa_user_sgpr_queue_ptr 0
		.amdhsa_user_sgpr_kernarg_segment_ptr 1
		.amdhsa_user_sgpr_dispatch_id 0
		.amdhsa_user_sgpr_kernarg_preload_length 0
		.amdhsa_user_sgpr_kernarg_preload_offset 0
		.amdhsa_user_sgpr_private_segment_size 0
		.amdhsa_uses_dynamic_stack 0
		.amdhsa_enable_private_segment 0
		.amdhsa_system_sgpr_workgroup_id_x 1
		.amdhsa_system_sgpr_workgroup_id_y 0
		.amdhsa_system_sgpr_workgroup_id_z 0
		.amdhsa_system_sgpr_workgroup_info 0
		.amdhsa_system_vgpr_workitem_id 0
		.amdhsa_next_free_vgpr 104
		.amdhsa_next_free_sgpr 20
		.amdhsa_accum_offset 104
		.amdhsa_reserve_vcc 1
		.amdhsa_float_round_mode_32 0
		.amdhsa_float_round_mode_16_64 0
		.amdhsa_float_denorm_mode_32 3
		.amdhsa_float_denorm_mode_16_64 3
		.amdhsa_dx10_clamp 1
		.amdhsa_ieee_mode 1
		.amdhsa_fp16_overflow 0
		.amdhsa_tg_split 0
		.amdhsa_exception_fp_ieee_invalid_op 0
		.amdhsa_exception_fp_denorm_src 0
		.amdhsa_exception_fp_ieee_div_zero 0
		.amdhsa_exception_fp_ieee_overflow 0
		.amdhsa_exception_fp_ieee_underflow 0
		.amdhsa_exception_fp_ieee_inexact 0
		.amdhsa_exception_int_div_zero 0
	.end_amdhsa_kernel
	.text
.Lfunc_end0:
	.size	bluestein_single_back_len63_dim1_dp_op_CI_CI, .Lfunc_end0-bluestein_single_back_len63_dim1_dp_op_CI_CI
                                        ; -- End function
	.section	.AMDGPU.csdata,"",@progbits
; Kernel info:
; codeLenInByte = 4156
; NumSgprs: 26
; NumVgprs: 104
; NumAgprs: 0
; TotalNumVgprs: 104
; ScratchSize: 0
; MemoryBound: 0
; FloatMode: 240
; IeeeMode: 1
; LDSByteSize: 12096 bytes/workgroup (compile time only)
; SGPRBlocks: 3
; VGPRBlocks: 12
; NumSGPRsForWavesPerEU: 26
; NumVGPRsForWavesPerEU: 104
; AccumOffset: 104
; Occupancy: 4
; WaveLimiterHint : 1
; COMPUTE_PGM_RSRC2:SCRATCH_EN: 0
; COMPUTE_PGM_RSRC2:USER_SGPR: 2
; COMPUTE_PGM_RSRC2:TRAP_HANDLER: 0
; COMPUTE_PGM_RSRC2:TGID_X_EN: 1
; COMPUTE_PGM_RSRC2:TGID_Y_EN: 0
; COMPUTE_PGM_RSRC2:TGID_Z_EN: 0
; COMPUTE_PGM_RSRC2:TIDIG_COMP_CNT: 0
; COMPUTE_PGM_RSRC3_GFX90A:ACCUM_OFFSET: 25
; COMPUTE_PGM_RSRC3_GFX90A:TG_SPLIT: 0
	.text
	.p2alignl 6, 3212836864
	.fill 256, 4, 3212836864
	.type	__hip_cuid_37d9d4fef726a63d,@object ; @__hip_cuid_37d9d4fef726a63d
	.section	.bss,"aw",@nobits
	.globl	__hip_cuid_37d9d4fef726a63d
__hip_cuid_37d9d4fef726a63d:
	.byte	0                               ; 0x0
	.size	__hip_cuid_37d9d4fef726a63d, 1

	.ident	"AMD clang version 19.0.0git (https://github.com/RadeonOpenCompute/llvm-project roc-6.4.0 25133 c7fe45cf4b819c5991fe208aaa96edf142730f1d)"
	.section	".note.GNU-stack","",@progbits
	.addrsig
	.addrsig_sym __hip_cuid_37d9d4fef726a63d
	.amdgpu_metadata
---
amdhsa.kernels:
  - .agpr_count:     0
    .args:
      - .actual_access:  read_only
        .address_space:  global
        .offset:         0
        .size:           8
        .value_kind:     global_buffer
      - .actual_access:  read_only
        .address_space:  global
        .offset:         8
        .size:           8
        .value_kind:     global_buffer
      - .actual_access:  read_only
        .address_space:  global
        .offset:         16
        .size:           8
        .value_kind:     global_buffer
      - .actual_access:  read_only
        .address_space:  global
        .offset:         24
        .size:           8
        .value_kind:     global_buffer
      - .actual_access:  read_only
        .address_space:  global
        .offset:         32
        .size:           8
        .value_kind:     global_buffer
      - .offset:         40
        .size:           8
        .value_kind:     by_value
      - .address_space:  global
        .offset:         48
        .size:           8
        .value_kind:     global_buffer
      - .address_space:  global
        .offset:         56
        .size:           8
        .value_kind:     global_buffer
      - .address_space:  global
        .offset:         64
        .size:           8
        .value_kind:     global_buffer
      - .address_space:  global
        .offset:         72
        .size:           8
        .value_kind:     global_buffer
      - .offset:         80
        .size:           4
        .value_kind:     by_value
      - .address_space:  global
        .offset:         88
        .size:           8
        .value_kind:     global_buffer
      - .address_space:  global
        .offset:         96
        .size:           8
        .value_kind:     global_buffer
    .group_segment_fixed_size: 12096
    .kernarg_segment_align: 8
    .kernarg_segment_size: 104
    .language:       OpenCL C
    .language_version:
      - 2
      - 0
    .max_flat_workgroup_size: 252
    .name:           bluestein_single_back_len63_dim1_dp_op_CI_CI
    .private_segment_fixed_size: 0
    .sgpr_count:     26
    .sgpr_spill_count: 0
    .symbol:         bluestein_single_back_len63_dim1_dp_op_CI_CI.kd
    .uniform_work_group_size: 1
    .uses_dynamic_stack: false
    .vgpr_count:     104
    .vgpr_spill_count: 0
    .wavefront_size: 64
amdhsa.target:   amdgcn-amd-amdhsa--gfx950
amdhsa.version:
  - 1
  - 2
...

	.end_amdgpu_metadata
